;; amdgpu-corpus repo=ROCm/rocFFT kind=compiled arch=gfx1201 opt=O3
	.text
	.amdgcn_target "amdgcn-amd-amdhsa--gfx1201"
	.amdhsa_code_object_version 6
	.protected	fft_rtc_fwd_len112_factors_7_2_8_wgs_64_tpt_8_dim2_dp_op_CI_CI_sbrc_aligned_dirReg ; -- Begin function fft_rtc_fwd_len112_factors_7_2_8_wgs_64_tpt_8_dim2_dp_op_CI_CI_sbrc_aligned_dirReg
	.globl	fft_rtc_fwd_len112_factors_7_2_8_wgs_64_tpt_8_dim2_dp_op_CI_CI_sbrc_aligned_dirReg
	.p2align	8
	.type	fft_rtc_fwd_len112_factors_7_2_8_wgs_64_tpt_8_dim2_dp_op_CI_CI_sbrc_aligned_dirReg,@function
fft_rtc_fwd_len112_factors_7_2_8_wgs_64_tpt_8_dim2_dp_op_CI_CI_sbrc_aligned_dirReg: ; @fft_rtc_fwd_len112_factors_7_2_8_wgs_64_tpt_8_dim2_dp_op_CI_CI_sbrc_aligned_dirReg
; %bb.0:
	s_load_b256 s[4:11], s[0:1], 0x0
	v_or_b32_e32 v3, 0xc0, v0
	v_or_b32_e32 v1, 64, v0
	;; [unrolled: 1-line block ×3, first 2 shown]
	v_mov_b32_e32 v65, 0
	v_or_b32_e32 v4, 0x100, v0
	v_and_b32_e32 v7, 0xffff, v3
	v_and_b32_e32 v5, 0xffff, v1
	;; [unrolled: 1-line block ×3, first 2 shown]
	s_load_b128 s[0:3], s[0:1], 0x50
	v_and_b32_e32 v8, 0xffff, v4
	v_mul_u32_u24_e32 v7, 0x24a, v7
	v_mul_u32_u24_e32 v5, 0x24a, v5
	v_mul_u32_u24_e32 v6, 0x24a, v6
	v_or_b32_e32 v19, 0x140, v0
	v_mul_u32_u24_e32 v8, 0x24a, v8
	v_lshrrev_b32_e32 v68, 16, v7
	v_lshrrev_b32_e32 v62, 16, v5
	;; [unrolled: 1-line block ×3, first 2 shown]
	s_mov_b32 s19, 0
	s_wait_kmcnt 0x0
	s_load_b32 s16, s[6:7], 0x8
	s_clause 0x1
	s_load_b128 s[12:15], s[8:9], 0x0
	s_load_b64 s[6:7], s[8:9], 0x10
	v_mul_lo_u16 v7, 0x70, v68
	v_mul_lo_u16 v5, 0x70, v62
	;; [unrolled: 1-line block ×3, first 2 shown]
	v_lshrrev_b32_e32 v69, 16, v8
	s_mov_b32 s17, s19
	v_sub_nc_u16 v72, v3, v7
	v_sub_nc_u16 v70, v1, v5
	;; [unrolled: 1-line block ×3, first 2 shown]
	v_mul_lo_u16 v8, 0x70, v69
	v_or_b32_e32 v23, 0x180, v0
	v_and_b32_e32 v15, 0xffff, v72
	v_and_b32_e32 v13, 0xffff, v70
	;; [unrolled: 1-line block ×3, first 2 shown]
	v_sub_nc_u16 v73, v4, v8
	v_or_b32_e32 v24, 0x1c0, v0
	v_or_b32_e32 v31, 0x200, v0
	;; [unrolled: 1-line block ×3, first 2 shown]
	s_wait_kmcnt 0x0
	s_add_co_i32 s16, s16, -1
	v_mul_lo_u32 v64, s14, v62
	s_lshr_b32 s8, s16, 3
	v_mad_co_u64_u32 v[1:2], null, s12, v0, 0
	s_add_co_i32 s9, s8, 1
	s_not_b32 s8, s8
	s_cvt_f32_u32 s15, s9
	v_mad_co_u64_u32 v[3:4], null, s12, v13, 0
	v_mad_co_u64_u32 v[5:6], null, s12, v14, 0
	s_wait_alu 0xfffe
	v_rcp_iflag_f32_e32 v7, s15
	v_and_b32_e32 v20, 0xffff, v73
	v_and_b32_e32 v26, 0xffff, v24
	;; [unrolled: 1-line block ×3, first 2 shown]
	v_mad_co_u64_u32 v[11:12], null, s13, v0, v[2:3]
	v_mad_co_u64_u32 v[12:13], null, s13, v13, v[4:5]
	v_or_b32_e32 v42, 0x2c0, v0
	v_lshrrev_b32_e32 v66, 3, v0
	s_delay_alu instid0(TRANS32_DEP_1)
	v_readfirstlane_b32 s15, v7
	v_lshlrev_b64_e32 v[7:8], 4, v[64:65]
	v_mov_b32_e32 v2, v11
	v_mul_lo_u32 v64, s14, v63
	v_mov_b32_e32 v4, v12
	s_mul_f32 s15, s15, 0x4f7ffffe
	v_and_b32_e32 v45, 0xffff, v42
	v_mad_co_u64_u32 v[13:14], null, s13, v14, v[6:7]
	s_wait_alu 0xfffe
	s_cvt_u32_f32 s15, s15
	v_and_b32_e32 v9, 0xffff, v19
	v_lshlrev_b64_e32 v[3:4], 4, v[3:4]
	v_lshlrev_b64_e32 v[1:2], 4, v[1:2]
	s_wait_alu 0xfffe
	s_mul_i32 s8, s8, s15
	v_dual_mov_b32 v6, v13 :: v_dual_and_b32 v67, 7, v0
	s_mul_hi_u32 s8, s15, s8
	v_mul_u32_u24_e32 v17, 0x24a, v9
	s_add_co_i32 s15, s15, s8
	v_mad_co_u64_u32 v[9:10], null, s12, v15, 0
	s_wait_alu 0xfffe
	s_mul_hi_u32 s8, ttmp9, s15
	v_lshlrev_b64_e32 v[5:6], 4, v[5:6]
	s_mul_i32 s15, s8, s9
	s_add_co_i32 s16, s8, 1
	s_wait_alu 0xfffe
	s_sub_co_i32 s15, ttmp9, s15
	v_lshrrev_b32_e32 v74, 16, v17
	s_wait_alu 0xfffe
	s_sub_co_i32 s18, s15, s9
	s_cmp_ge_u32 s15, s9
	v_mad_co_u64_u32 v[14:15], null, s13, v15, v[10:11]
	s_cselect_b32 s8, s16, s8
	s_cselect_b32 s15, s18, s15
	s_add_co_i32 s16, s8, 1
	s_wait_alu 0xfffe
	s_cmp_ge_u32 s15, s9
	v_lshlrev_b64_e32 v[15:16], 4, v[64:65]
	s_cselect_b32 s16, s16, s8
	v_mov_b32_e32 v10, v14
	s_mul_i32 s8, s16, s9
	s_mul_u64 s[6:7], s[6:7], s[16:17]
	s_sub_co_i32 s8, ttmp9, s8
	s_lshl_b64 s[6:7], s[6:7], 4
	s_lshl_b32 s20, s8, 3
	s_add_nc_u64 s[0:1], s[0:1], s[6:7]
	s_mul_i32 s18, s20, s14
	v_mad_co_u64_u32 v[17:18], null, s12, v20, 0
	s_lshl_b64 s[6:7], s[18:19], 4
	v_lshlrev_b64_e32 v[9:10], 4, v[9:10]
	s_add_nc_u64 s[0:1], s[0:1], s[6:7]
	v_mul_lo_u16 v13, 0x70, v74
	v_add_co_u32 v3, vcc_lo, s0, v3
	v_add_co_ci_u32_e32 v4, vcc_lo, s1, v4, vcc_lo
	v_add_co_u32 v1, vcc_lo, s0, v1
	s_wait_alu 0xfffd
	v_add_co_ci_u32_e32 v2, vcc_lo, s1, v2, vcc_lo
	v_add_co_u32 v7, vcc_lo, v3, v7
	s_wait_alu 0xfffd
	;; [unrolled: 3-line block ×3, first 2 shown]
	v_add_co_ci_u32_e32 v12, vcc_lo, s1, v6, vcc_lo
	v_sub_nc_u16 v75, v19, v13
	s_delay_alu instid0(VALU_DEP_3) | instskip(SKIP_1) | instid1(VALU_DEP_3)
	v_add_co_u32 v11, vcc_lo, v11, v15
	s_wait_alu 0xfffd
	v_add_co_ci_u32_e32 v12, vcc_lo, v12, v16, vcc_lo
	v_add_co_u32 v15, vcc_lo, s0, v9
	v_dual_mov_b32 v9, v18 :: v_dual_and_b32 v18, 0xffff, v23
	s_wait_alu 0xfffd
	v_add_co_ci_u32_e32 v16, vcc_lo, s1, v10, vcc_lo
	v_mul_lo_u32 v64, s14, v68
	s_delay_alu instid0(VALU_DEP_3)
	v_mad_co_u64_u32 v[9:10], null, s13, v20, v[9:10]
	v_mul_u32_u24_e32 v10, 0x24a, v18
	v_and_b32_e32 v21, 0xffff, v75
	s_clause 0x1
	global_load_b128 v[1:4], v[1:2], off
	global_load_b128 v[5:8], v[7:8], off
	s_mov_b32 s8, 0x37e14327
	s_mov_b32 s9, 0x3fe948f6
	v_lshrrev_b32_e32 v76, 16, v10
	v_mad_co_u64_u32 v[19:20], null, s12, v21, 0
	v_mov_b32_e32 v18, v9
	v_lshlrev_b64_e32 v[13:14], 4, v[64:65]
	s_delay_alu instid0(VALU_DEP_4)
	v_mul_lo_u16 v25, 0x70, v76
	v_mul_lo_u32 v64, s14, v69
	s_mov_b32 s6, 0x429ad128
	v_lshlrev_b64_e32 v[17:18], 4, v[17:18]
	v_mad_co_u64_u32 v[20:21], null, s13, v21, v[20:21]
	v_sub_nc_u16 v77, v23, v25
	v_mul_u32_u24_e32 v23, 0x24a, v26
	v_add_co_u32 v13, vcc_lo, v15, v13
	s_wait_alu 0xfffd
	v_add_co_ci_u32_e32 v14, vcc_lo, v16, v14, vcc_lo
	v_lshlrev_b64_e32 v[21:22], 4, v[64:65]
	v_add_co_u32 v17, vcc_lo, s0, v17
	v_and_b32_e32 v27, 0xffff, v77
	v_lshrrev_b32_e32 v78, 16, v23
	s_wait_alu 0xfffd
	v_add_co_ci_u32_e32 v18, vcc_lo, s1, v18, vcc_lo
	v_lshlrev_b64_e32 v[19:20], 4, v[19:20]
	v_mul_lo_u32 v64, s14, v74
	v_add_co_u32 v17, vcc_lo, v17, v21
	v_mul_lo_u16 v21, 0x70, v78
	v_mad_co_u64_u32 v[25:26], null, s12, v27, 0
	s_wait_alu 0xfffd
	v_add_co_ci_u32_e32 v18, vcc_lo, v18, v22, vcc_lo
	s_delay_alu instid0(VALU_DEP_3)
	v_sub_nc_u16 v79, v24, v21
	v_add_co_u32 v24, vcc_lo, s0, v19
	s_wait_alu 0xfffd
	v_add_co_ci_u32_e32 v29, vcc_lo, s1, v20, vcc_lo
	v_lshlrev_b64_e32 v[20:21], 4, v[64:65]
	v_dual_mov_b32 v19, v26 :: v_dual_and_b32 v26, 0xffff, v31
	v_and_b32_e32 v30, 0xffff, v79
	v_mul_lo_u32 v64, s14, v76
	s_clause 0x1
	global_load_b128 v[9:12], v[11:12], off
	global_load_b128 v[13:16], v[13:14], off
	v_mad_co_u64_u32 v[22:23], null, s13, v27, v[19:20]
	v_mul_u32_u24_e32 v19, 0x493, v26
	v_mad_co_u64_u32 v[27:28], null, s12, v30, 0
	v_add_co_u32 v23, vcc_lo, v24, v20
	s_delay_alu instid0(VALU_DEP_3)
	v_lshrrev_b32_e32 v80, 17, v19
	v_mov_b32_e32 v26, v22
	s_wait_alu 0xfffd
	v_add_co_ci_u32_e32 v24, vcc_lo, v29, v21, vcc_lo
	v_mad_co_u64_u32 v[28:29], null, s13, v30, v[28:29]
	v_mul_lo_u16 v32, 0x70, v80
	v_lshlrev_b64_e32 v[25:26], 4, v[25:26]
	v_lshlrev_b64_e32 v[29:30], 4, v[64:65]
	v_mul_lo_u32 v64, s14, v78
	s_clause 0x1
	global_load_b128 v[17:20], v[17:18], off
	global_load_b128 v[21:24], v[23:24], off
	v_sub_nc_u16 v81, v31, v32
	v_or_b32_e32 v32, 0x240, v0
	v_add_co_u32 v25, vcc_lo, s0, v25
	s_wait_alu 0xfffd
	v_add_co_ci_u32_e32 v26, vcc_lo, s1, v26, vcc_lo
	v_and_b32_e32 v31, 0xffff, v81
	v_and_b32_e32 v33, 0xffff, v32
	v_lshlrev_b64_e32 v[27:28], 4, v[27:28]
	v_add_co_u32 v25, vcc_lo, v25, v29
	s_delay_alu instid0(VALU_DEP_4) | instskip(NEXT) | instid1(VALU_DEP_4)
	v_mad_co_u64_u32 v[38:39], null, s12, v31, 0
	v_mul_u32_u24_e32 v29, 0x493, v33
	s_wait_alu 0xfffd
	v_add_co_ci_u32_e32 v26, vcc_lo, v26, v30, vcc_lo
	v_add_co_u32 v33, vcc_lo, s0, v27
	s_delay_alu instid0(VALU_DEP_3)
	v_lshrrev_b32_e32 v82, 17, v29
	s_wait_alu 0xfffd
	v_add_co_ci_u32_e32 v34, vcc_lo, s1, v28, vcc_lo
	v_lshlrev_b64_e32 v[28:29], 4, v[64:65]
	v_mov_b32_e32 v27, v39
	v_mul_lo_u16 v35, 0x70, v82
	v_mul_lo_u32 v64, s14, v80
	s_mov_b32 s18, 0x36b3c0b5
	s_mov_b32 s7, 0x3febfeb5
	v_mad_co_u64_u32 v[30:31], null, s13, v31, v[27:28]
	v_add_co_u32 v27, vcc_lo, v33, v28
	v_mul_u32_u24_e32 v31, 0x493, v36
	s_wait_alu 0xfffd
	v_add_co_ci_u32_e32 v28, vcc_lo, v34, v29, vcc_lo
	v_sub_nc_u16 v83, v32, v35
	v_mov_b32_e32 v39, v30
	v_lshrrev_b32_e32 v84, 17, v31
	s_clause 0x1
	global_load_b128 v[30:33], v[25:26], off
	global_load_b128 v[34:37], v[27:28], off
	s_mov_b32 s19, 0x3fac98ee
	v_and_b32_e32 v41, 0xffff, v83
	v_lshlrev_b64_e32 v[25:26], 4, v[38:39]
	v_mul_lo_u16 v29, 0x70, v84
	s_mov_b32 s22, 0xb247c609
	s_mov_b32 s23, 0x3fd5d0dc
	v_mad_co_u64_u32 v[27:28], null, s12, v41, 0
	s_delay_alu instid0(VALU_DEP_2) | instskip(SKIP_3) | instid1(VALU_DEP_3)
	v_sub_nc_u16 v85, v40, v29
	v_add_co_u32 v40, vcc_lo, s0, v25
	s_wait_alu 0xfffd
	v_add_co_ci_u32_e32 v43, vcc_lo, s1, v26, vcc_lo
	v_dual_mov_b32 v25, v28 :: v_dual_and_b32 v44, 0xffff, v85
	v_lshlrev_b64_e32 v[28:29], 4, v[64:65]
	v_mul_lo_u32 v64, s14, v82
	s_mov_b32 s24, 0x5476071b
	s_delay_alu instid0(VALU_DEP_3)
	v_mad_co_u64_u32 v[38:39], null, s12, v44, 0
	v_mad_co_u64_u32 v[25:26], null, s13, v41, v[25:26]
	v_mul_u32_u24_e32 v26, 0x493, v45
	v_or_b32_e32 v45, 0x300, v0
	v_add_co_u32 v40, vcc_lo, v40, v28
	s_wait_alu 0xfffd
	v_add_co_ci_u32_e32 v41, vcc_lo, v43, v29, vcc_lo
	s_delay_alu instid0(VALU_DEP_3) | instskip(SKIP_3) | instid1(VALU_DEP_3)
	v_dual_mov_b32 v28, v25 :: v_dual_and_b32 v29, 0xffff, v45
	v_or_b32_e32 v43, 0x340, v0
	v_lshrrev_b32_e32 v86, 17, v26
	s_mov_b32 s25, 0x3fe77f67
	v_lshlrev_b64_e32 v[25:26], 4, v[27:28]
	v_mov_b32_e32 v27, v39
	v_mul_u32_u24_e32 v29, 0x493, v29
	v_and_b32_e32 v46, 0xffff, v43
	v_mul_lo_u16 v39, 0x70, v86
	s_mov_b32 s27, 0xbfe77f67
	v_mad_co_u64_u32 v[27:28], null, s13, v44, v[27:28]
	v_lshrrev_b32_e32 v88, 17, v29
	v_mul_u32_u24_e32 v28, 0x493, v46
	v_sub_nc_u16 v87, v42, v39
	v_add_co_u32 v29, vcc_lo, s0, v25
	s_delay_alu instid0(VALU_DEP_4) | instskip(NEXT) | instid1(VALU_DEP_4)
	v_mul_lo_u16 v46, 0x70, v88
	v_lshrrev_b32_e32 v89, 17, v28
	s_wait_alu 0xfffd
	v_add_co_ci_u32_e32 v42, vcc_lo, s1, v26, vcc_lo
	v_lshlrev_b64_e32 v[25:26], 4, v[64:65]
	v_sub_nc_u16 v90, v45, v46
	v_mul_lo_u16 v45, 0x70, v89
	v_dual_mov_b32 v39, v27 :: v_dual_and_b32 v44, 0xffff, v87
	v_mul_lo_u32 v64, s14, v84
	s_delay_alu instid0(VALU_DEP_4) | instskip(NEXT) | instid1(VALU_DEP_4)
	v_and_b32_e32 v46, 0xffff, v90
	v_sub_nc_u16 v91, v43, v45
	s_delay_alu instid0(VALU_DEP_4)
	v_mad_co_u64_u32 v[27:28], null, s12, v44, 0
	v_add_co_u32 v25, vcc_lo, v29, v25
	s_wait_alu 0xfffd
	v_add_co_ci_u32_e32 v26, vcc_lo, v42, v26, vcc_lo
	v_and_b32_e32 v49, 0xffff, v91
	v_mad_co_u64_u32 v[42:43], null, s12, v46, 0
	v_lshlrev_b64_e32 v[38:39], 4, v[38:39]
	v_mad_co_u64_u32 v[28:29], null, s13, v44, v[28:29]
	s_delay_alu instid0(VALU_DEP_4) | instskip(SKIP_1) | instid1(VALU_DEP_3)
	v_mad_co_u64_u32 v[44:45], null, s12, v49, 0
	s_mov_b32 s26, s24
	v_add_co_u32 v48, vcc_lo, s0, v38
	v_mov_b32_e32 v29, v43
	s_wait_alu 0xfffd
	v_add_co_ci_u32_e32 v50, vcc_lo, s1, v39, vcc_lo
	v_lshlrev_b64_e32 v[38:39], 4, v[64:65]
	v_mul_lo_u32 v64, s14, v86
	v_lshlrev_b64_e32 v[27:28], 4, v[27:28]
	s_wait_loadcnt 0x1
	v_mad_co_u64_u32 v[46:47], null, s13, v46, v[29:30]
	v_mov_b32_e32 v29, v45
	v_add_co_u32 v47, vcc_lo, v48, v38
	s_wait_alu 0xfffd
	v_add_co_ci_u32_e32 v48, vcc_lo, v50, v39, vcc_lo
	s_delay_alu instid0(VALU_DEP_3)
	v_mad_co_u64_u32 v[49:50], null, s13, v49, v[29:30]
	v_mov_b32_e32 v43, v46
	v_lshlrev_b64_e32 v[38:39], 4, v[64:65]
	v_mul_lo_u32 v64, s14, v88
	v_add_co_u32 v29, vcc_lo, s0, v27
	s_wait_alu 0xfffd
	v_add_co_ci_u32_e32 v46, vcc_lo, s1, v28, vcc_lo
	v_mov_b32_e32 v45, v49
	s_delay_alu instid0(VALU_DEP_3)
	v_add_co_u32 v50, vcc_lo, v29, v38
	v_lshlrev_b64_e32 v[27:28], 4, v[42:43]
	s_wait_alu 0xfffd
	v_add_co_ci_u32_e32 v51, vcc_lo, v46, v39, vcc_lo
	v_lshlrev_b64_e32 v[38:39], 4, v[64:65]
	v_mul_lo_u32 v64, s14, v89
	v_lshlrev_b64_e32 v[42:43], 4, v[44:45]
	v_add_co_u32 v29, vcc_lo, s0, v27
	s_wait_alu 0xfffd
	v_add_co_ci_u32_e32 v44, vcc_lo, s1, v28, vcc_lo
	s_delay_alu instid0(VALU_DEP_3)
	v_add_co_u32 v42, vcc_lo, s0, v42
	v_lshlrev_b64_e32 v[27:28], 4, v[64:65]
	s_wait_alu 0xfffd
	v_add_co_ci_u32_e32 v43, vcc_lo, s1, v43, vcc_lo
	v_add_co_u32 v54, vcc_lo, v29, v38
	s_wait_alu 0xfffd
	v_add_co_ci_u32_e32 v55, vcc_lo, v44, v39, vcc_lo
	v_add_co_u32 v27, vcc_lo, v42, v27
	s_wait_alu 0xfffd
	v_add_co_ci_u32_e32 v28, vcc_lo, v43, v28, vcc_lo
	s_clause 0x5
	global_load_b128 v[38:41], v[40:41], off
	global_load_b128 v[42:45], v[25:26], off
	;; [unrolled: 1-line block ×6, first 2 shown]
	v_lshlrev_b32_e32 v26, 7, v66
	v_lshlrev_b32_e32 v25, 4, v67
	v_lshlrev_b16 v28, 3, v71
	v_lshlrev_b16 v64, 3, v72
	;; [unrolled: 1-line block ×4, first 2 shown]
	v_add3_u32 v29, 0, v26, v25
	v_lshlrev_b16 v26, 3, v70
	v_lshlrev_b16 v70, 3, v73
	;; [unrolled: 1-line block ×9, first 2 shown]
	v_or_b32_e32 v26, v26, v62
	v_or_b32_e32 v28, v28, v63
	;; [unrolled: 1-line block ×13, first 2 shown]
	v_and_b32_e32 v26, 0xffff, v26
	v_and_b32_e32 v28, 0xffff, v28
	;; [unrolled: 1-line block ×4, first 2 shown]
	v_lshl_add_u32 v27, v0, 7, 0
	v_and_b32_e32 v64, 0xffff, v64
	v_and_b32_e32 v68, 0xffff, v68
	;; [unrolled: 1-line block ×9, first 2 shown]
	v_lshl_add_u32 v26, v26, 4, 0
	v_lshl_add_u32 v28, v28, 4, 0
	;; [unrolled: 1-line block ×4, first 2 shown]
	s_clause 0x1
	s_load_b128 s[12:15], s[10:11], 0x0
	s_load_b64 s[0:1], s[10:11], 0x10
	v_lshl_add_u32 v64, v64, 4, 0
	v_lshl_add_u32 v68, v68, 4, 0
	;; [unrolled: 1-line block ×9, first 2 shown]
	s_mov_b32 s10, 0xe976ee23
	s_mov_b32 s11, 0xbfe11646
	v_cmp_gt_u32_e32 vcc_lo, 48, v0
	ds_store_b128 v27, v[1:4]
	ds_store_b128 v26, v[5:8]
	ds_store_b128 v28, v[9:12]
	ds_store_b128 v62, v[13:16]
	ds_store_b128 v63, v[17:20]
	ds_store_b128 v64, v[21:24]
	ds_store_b128 v68, v[30:33]
	s_wait_loadcnt 0x6
	ds_store_b128 v69, v[34:37]
	s_wait_loadcnt 0x5
	ds_store_b128 v70, v[38:41]
	;; [unrolled: 2-line block ×7, first 2 shown]
	global_wb scope:SCOPE_SE
	s_wait_dscnt 0x0
	s_wait_kmcnt 0x0
	s_barrier_signal -1
	s_barrier_wait -1
	global_inv scope:SCOPE_SE
	ds_load_b128 v[1:4], v29 offset:12288
	ds_load_b128 v[5:8], v29 offset:2048
	;; [unrolled: 1-line block ×12, first 2 shown]
	v_or_b32_e32 v64, 16, v66
	v_mul_lo_u16 v28, v66, 37
	s_delay_alu instid0(VALU_DEP_1)
	v_lshrrev_b16 v28, 8, v28
	s_wait_dscnt 0xa
	v_add_f64_e32 v[26:27], v[5:6], v[1:2]
	v_add_f64_e32 v[54:55], v[7:8], v[3:4]
	s_wait_dscnt 0x8
	v_add_f64_e32 v[56:57], v[9:10], v[13:14]
	v_add_f64_e32 v[58:59], v[11:12], v[15:16]
	;; [unrolled: 3-line block ×4, first 2 shown]
	v_add_f64_e64 v[9:10], v[9:10], -v[13:14]
	s_wait_dscnt 0x2
	v_add_f64_e64 v[13:14], v[38:39], -v[42:43]
	v_add_f64_e64 v[72:73], v[5:6], -v[1:2]
	;; [unrolled: 1-line block ×5, first 2 shown]
	v_add_f64_e32 v[1:2], v[42:43], v[38:39]
	v_add_f64_e32 v[3:4], v[44:45], v[40:41]
	v_add_f64_e64 v[30:31], v[30:31], -v[34:35]
	v_add_f64_e64 v[32:33], v[32:33], -v[36:37]
	s_wait_dscnt 0x0
	v_add_f64_e32 v[34:35], v[46:47], v[50:51]
	v_add_f64_e32 v[36:37], v[48:49], v[52:53]
	v_add_f64_e64 v[38:39], v[50:51], -v[46:47]
	v_add_f64_e64 v[40:41], v[52:53], -v[48:49]
	v_add_f64_e64 v[17:18], v[17:18], -v[21:22]
	v_add_f64_e64 v[19:20], v[19:20], -v[23:24]
	v_add_f64_e32 v[5:6], v[56:57], v[26:27]
	v_add_f64_e32 v[7:8], v[58:59], v[54:55]
	;; [unrolled: 1-line block ×4, first 2 shown]
	v_add_f64_e64 v[42:43], v[13:14], -v[9:10]
	v_add_f64_e64 v[44:45], v[9:10], -v[72:73]
	v_add_f64_e32 v[9:10], v[13:14], v[9:10]
	v_add_f64_e64 v[46:47], v[15:16], -v[11:12]
	v_add_f64_e64 v[48:49], v[11:12], -v[74:75]
	;; [unrolled: 1-line block ×12, first 2 shown]
	v_add_f64_e32 v[11:12], v[15:16], v[11:12]
	v_add_f64_e32 v[30:31], v[38:39], v[30:31]
	;; [unrolled: 1-line block ×3, first 2 shown]
	v_add_f64_e64 v[13:14], v[72:73], -v[13:14]
	v_add_f64_e64 v[15:16], v[74:75], -v[15:16]
	;; [unrolled: 1-line block ×8, first 2 shown]
	v_add_f64_e32 v[80:81], v[1:2], v[5:6]
	v_add_f64_e32 v[82:83], v[3:4], v[7:8]
	ds_load_b128 v[1:4], v29
	ds_load_b128 v[5:8], v29 offset:1024
	v_add_f64_e32 v[21:22], v[34:35], v[21:22]
	v_add_f64_e32 v[23:24], v[36:37], v[23:24]
	v_add_f64_e64 v[34:35], v[34:35], -v[68:69]
	v_add_f64_e64 v[36:37], v[36:37], -v[70:71]
	v_mul_f64_e32 v[42:43], s[10:11], v[42:43]
	v_mul_f64_e32 v[56:57], s[6:7], v[44:45]
	;; [unrolled: 1-line block ×14, first 2 shown]
	s_mov_b32 s10, 0xaaaaaaaa
	s_mov_b32 s11, 0xbff2aaaa
	s_mov_b32 s9, 0xbfd5d0dc
	s_mov_b32 s8, s22
	v_add_f64_e32 v[9:10], v[9:10], v[72:73]
	v_add_f64_e32 v[11:12], v[11:12], v[74:75]
	;; [unrolled: 1-line block ×4, first 2 shown]
	global_wb scope:SCOPE_SE
	s_wait_dscnt 0x0
	s_barrier_signal -1
	s_barrier_wait -1
	global_inv scope:SCOPE_SE
	v_add_f64_e32 v[1:2], v[1:2], v[80:81]
	v_add_f64_e32 v[3:4], v[3:4], v[82:83]
	;; [unrolled: 1-line block ×4, first 2 shown]
	v_mul_f64_e32 v[70:71], s[18:19], v[34:35]
	v_mul_f64_e32 v[102:103], s[18:19], v[36:37]
	v_fma_f64 v[30:31], v[44:45], s[6:7], -v[42:43]
	v_fma_f64 v[32:33], v[13:14], s[22:23], v[42:43]
	v_fma_f64 v[42:43], v[48:49], s[6:7], -v[46:47]
	v_fma_f64 v[44:45], v[15:16], s[22:23], v[46:47]
	v_fma_f64 v[46:47], v[76:77], s[18:19], v[50:51]
	v_fma_f64 v[48:49], v[78:79], s[18:19], v[52:53]
	s_wait_alu 0xfffe
	v_fma_f64 v[13:14], v[13:14], s[8:9], -v[56:57]
	v_fma_f64 v[15:16], v[15:16], s[8:9], -v[58:59]
	;; [unrolled: 1-line block ×6, first 2 shown]
	v_fma_f64 v[34:35], v[34:35], s[18:19], v[84:85]
	v_fma_f64 v[36:37], v[36:37], s[18:19], v[86:87]
	;; [unrolled: 1-line block ×4, first 2 shown]
	v_fma_f64 v[76:77], v[92:93], s[6:7], -v[88:89]
	v_fma_f64 v[78:79], v[94:95], s[6:7], -v[90:91]
	;; [unrolled: 1-line block ×4, first 2 shown]
	s_mov_b32 s6, 0x37c3f68c
	s_mov_b32 s7, 0x3fdc38aa
	v_or_b32_e32 v68, 8, v66
	v_or_b32_e32 v90, 32, v66
	;; [unrolled: 1-line block ×4, first 2 shown]
	v_mul_lo_u16 v93, v28, 7
	v_mad_u32_u24 v96, 0x300, v66, v29
	v_fma_f64 v[72:73], v[80:81], s[10:11], v[1:2]
	v_fma_f64 v[74:75], v[82:83], s[10:11], v[3:4]
	v_fma_f64 v[80:81], v[60:61], s[26:27], -v[84:85]
	v_fma_f64 v[82:83], v[62:63], s[26:27], -v[86:87]
	v_fma_f64 v[21:22], v[21:22], s[10:11], v[5:6]
	v_fma_f64 v[23:24], v[23:24], s[10:11], v[7:8]
	v_fma_f64 v[60:61], v[60:61], s[24:25], -v[70:71]
	v_fma_f64 v[62:63], v[62:63], s[24:25], -v[102:103]
	s_wait_alu 0xfffe
	v_fma_f64 v[30:31], v[9:10], s[6:7], v[30:31]
	v_fma_f64 v[69:70], v[9:10], s[6:7], v[32:33]
	;; [unrolled: 1-line block ×6, first 2 shown]
	v_mul_lo_u16 v9, v68, 37
	v_mul_lo_u16 v10, v64, 37
	;; [unrolled: 1-line block ×5, first 2 shown]
	v_lshrrev_b16 v94, 8, v9
	v_lshrrev_b16 v95, 8, v10
	v_lshrrev_b16 v98, 8, v12
	v_lshrrev_b16 v99, 8, v13
	v_lshrrev_b16 v100, 8, v14
	v_add_f64_e32 v[46:47], v[46:47], v[72:73]
	v_add_f64_e32 v[48:49], v[48:49], v[74:75]
	v_add_f64_e32 v[26:27], v[26:27], v[72:73]
	v_add_f64_e32 v[50:51], v[50:51], v[74:75]
	v_add_f64_e32 v[56:57], v[56:57], v[72:73]
	v_add_f64_e32 v[58:59], v[58:59], v[74:75]
	v_fma_f64 v[71:72], v[17:18], s[6:7], v[52:53]
	v_fma_f64 v[73:74], v[19:20], s[6:7], v[54:55]
	v_add_f64_e32 v[86:87], v[34:35], v[21:22]
	v_add_f64_e32 v[88:89], v[36:37], v[23:24]
	v_fma_f64 v[52:53], v[17:18], s[6:7], v[76:77]
	v_fma_f64 v[54:55], v[19:20], s[6:7], v[78:79]
	;; [unrolled: 1-line block ×4, first 2 shown]
	v_add_f64_e32 v[79:80], v[80:81], v[21:22]
	v_add_f64_e32 v[81:82], v[82:83], v[23:24]
	;; [unrolled: 1-line block ×4, first 2 shown]
	v_or_b32_e32 v83, 24, v66
	s_delay_alu instid0(VALU_DEP_1) | instskip(NEXT) | instid1(VALU_DEP_1)
	v_mul_lo_u16 v11, v83, 37
	v_lshrrev_b16 v97, 8, v11
	v_add_f64_e32 v[9:10], v[46:47], v[44:45]
	v_add_f64_e64 v[11:12], v[48:49], -v[69:70]
	v_add_f64_e32 v[13:14], v[26:27], v[84:85]
	v_add_f64_e64 v[15:16], v[50:51], -v[42:43]
	v_add_f64_e64 v[17:18], v[56:57], -v[32:33]
	v_add_f64_e32 v[19:20], v[30:31], v[58:59]
	v_add_f64_e32 v[21:22], v[56:57], v[32:33]
	v_add_f64_e64 v[23:24], v[58:59], -v[30:31]
	v_add_f64_e64 v[30:31], v[26:27], -v[84:85]
	v_add_f64_e32 v[32:33], v[42:43], v[50:51]
	v_add_f64_e64 v[34:35], v[46:47], -v[44:45]
	v_add_f64_e32 v[36:37], v[69:70], v[48:49]
	v_add_f64_e32 v[38:39], v[86:87], v[73:74]
	v_add_f64_e64 v[40:41], v[88:89], -v[71:72]
	v_add_f64_e32 v[42:43], v[79:80], v[77:78]
	v_add_f64_e64 v[44:45], v[81:82], -v[75:76]
	v_add_f64_e64 v[46:47], v[60:61], -v[54:55]
	v_add_f64_e32 v[48:49], v[52:53], v[62:63]
	v_add_f64_e32 v[50:51], v[60:61], v[54:55]
	v_add_f64_e64 v[52:53], v[62:63], -v[52:53]
	v_add_f64_e64 v[54:55], v[79:80], -v[77:78]
	v_add_f64_e32 v[56:57], v[75:76], v[81:82]
	v_add_f64_e64 v[58:59], v[86:87], -v[73:74]
	v_add_f64_e32 v[60:61], v[71:72], v[88:89]
	v_sub_nc_u16 v26, v66, v93
	v_mul_lo_u16 v27, v94, 7
	v_mul_lo_u16 v62, v95, 7
	;; [unrolled: 1-line block ×4, first 2 shown]
	v_and_b32_e32 v84, 0xff, v26
	v_sub_nc_u16 v26, v68, v27
	v_sub_nc_u16 v27, v64, v62
	v_mul_lo_u16 v70, v99, 7
	v_sub_nc_u16 v62, v83, v63
	v_mul_lo_u16 v71, v100, 7
	v_and_b32_e32 v85, 0xff, v26
	v_and_b32_e32 v86, 0xff, v27
	v_sub_nc_u16 v63, v90, v69
	v_lshlrev_b32_e32 v26, 4, v84
	v_sub_nc_u16 v69, v91, v70
	v_and_b32_e32 v87, 0xff, v62
	v_sub_nc_u16 v70, v92, v71
	v_lshlrev_b32_e32 v27, 4, v85
	ds_store_b128 v96, v[1:4]
	ds_store_b128 v96, v[9:12] offset:128
	ds_store_b128 v96, v[13:16] offset:256
	;; [unrolled: 1-line block ×13, first 2 shown]
	v_lshlrev_b32_e32 v9, 4, v86
	v_and_b32_e32 v88, 0xff, v63
	global_wb scope:SCOPE_SE
	s_wait_dscnt 0x0
	s_barrier_signal -1
	s_barrier_wait -1
	global_inv scope:SCOPE_SE
	s_clause 0x1
	global_load_b128 v[1:4], v26, s[4:5]
	global_load_b128 v[5:8], v27, s[4:5]
	v_and_b32_e32 v89, 0xff, v69
	v_lshlrev_b32_e32 v13, 4, v87
	v_and_b32_e32 v93, 0xff, v70
	global_load_b128 v[9:12], v9, s[4:5]
	v_lshlrev_b32_e32 v17, 4, v88
	v_lshlrev_b32_e32 v21, 4, v89
	global_load_b128 v[13:16], v13, s[4:5]
	v_lshlrev_b32_e32 v26, 4, v93
	s_clause 0x2
	global_load_b128 v[17:20], v17, s[4:5]
	global_load_b128 v[21:24], v21, s[4:5]
	;; [unrolled: 1-line block ×3, first 2 shown]
	ds_load_b128 v[34:37], v29 offset:7168
	ds_load_b128 v[38:41], v29 offset:8192
	;; [unrolled: 1-line block ×7, first 2 shown]
	ds_load_b128 v[69:72], v29
	s_wait_loadcnt_dscnt 0x607
	v_mul_f64_e32 v[26:27], v[36:37], v[3:4]
	v_mul_f64_e32 v[3:4], v[34:35], v[3:4]
	s_wait_loadcnt_dscnt 0x506
	v_mul_f64_e32 v[62:63], v[40:41], v[7:8]
	v_mul_f64_e32 v[7:8], v[38:39], v[7:8]
	s_wait_loadcnt_dscnt 0x405
	v_mul_f64_e32 v[73:74], v[44:45], v[11:12]
	v_mul_f64_e32 v[11:12], v[42:43], v[11:12]
	s_wait_loadcnt_dscnt 0x304
	v_mul_f64_e32 v[75:76], v[48:49], v[15:16]
	v_mul_f64_e32 v[15:16], v[46:47], v[15:16]
	s_wait_loadcnt_dscnt 0x203
	v_mul_f64_e32 v[77:78], v[52:53], v[19:20]
	v_mul_f64_e32 v[19:20], v[50:51], v[19:20]
	s_wait_loadcnt_dscnt 0x102
	v_mul_f64_e32 v[79:80], v[56:57], v[23:24]
	v_mul_f64_e32 v[23:24], v[54:55], v[23:24]
	s_wait_loadcnt_dscnt 0x1
	v_mul_f64_e32 v[81:82], v[60:61], v[32:33]
	v_mul_f64_e32 v[32:33], v[58:59], v[32:33]
	v_fma_f64 v[26:27], v[34:35], v[1:2], -v[26:27]
	v_fma_f64 v[1:2], v[36:37], v[1:2], v[3:4]
	v_fma_f64 v[3:4], v[38:39], v[5:6], -v[62:63]
	v_fma_f64 v[5:6], v[40:41], v[5:6], v[7:8]
	v_mul_i32_i24_e32 v34, 0xfffffd00, v68
	v_fma_f64 v[7:8], v[42:43], v[9:10], -v[73:74]
	v_fma_f64 v[9:10], v[44:45], v[9:10], v[11:12]
	v_lshlrev_b32_e32 v35, 7, v64
	v_fma_f64 v[11:12], v[46:47], v[13:14], -v[75:76]
	v_fma_f64 v[62:63], v[48:49], v[13:14], v[15:16]
	v_fma_f64 v[73:74], v[50:51], v[17:18], -v[77:78]
	v_fma_f64 v[75:76], v[52:53], v[17:18], v[19:20]
	v_fma_f64 v[77:78], v[54:55], v[21:22], -v[79:80]
	v_fma_f64 v[79:80], v[56:57], v[21:22], v[23:24]
	v_fma_f64 v[81:82], v[58:59], v[30:31], -v[81:82]
	v_fma_f64 v[59:60], v[60:61], v[30:31], v[32:33]
	v_lshlrev_b32_e32 v36, 7, v83
	v_add3_u32 v30, 0x1c00, v96, v34
	v_lshlrev_b32_e32 v17, 7, v90
	v_add3_u32 v18, 0, v35, v25
	;; [unrolled: 2-line block ×3, first 2 shown]
	v_lshlrev_b32_e32 v31, 7, v92
	ds_load_b128 v[13:16], v30
	v_add3_u32 v32, 0, v17, v25
	ds_load_b128 v[17:20], v18
	v_add3_u32 v35, 0, v21, v25
	;; [unrolled: 2-line block ×3, first 2 shown]
	ds_load_b128 v[31:34], v32
	ds_load_b128 v[35:38], v35
	ds_load_b128 v[39:42], v39
	v_and_b32_e32 v64, 0xffff, v98
	global_wb scope:SCOPE_SE
	s_wait_dscnt 0x0
	s_barrier_signal -1
	s_barrier_wait -1
	global_inv scope:SCOPE_SE
	v_add_f64_e64 v[43:44], v[69:70], -v[26:27]
	v_add_f64_e64 v[45:46], v[71:72], -v[1:2]
	v_and_b32_e32 v26, 0xffff, v28
	v_and_b32_e32 v27, 0xffff, v94
	;; [unrolled: 1-line block ×3, first 2 shown]
	v_add_f64_e64 v[47:48], v[13:14], -v[3:4]
	v_add_f64_e64 v[49:50], v[15:16], -v[5:6]
	;; [unrolled: 1-line block ×12, first 2 shown]
	v_and_b32_e32 v81, 0xffff, v99
	v_mul_u32_u24_e32 v26, 14, v26
	v_and_b32_e32 v63, 0xffff, v97
	v_mul_u32_u24_e32 v27, 14, v27
	v_mul_u32_u24_e32 v28, 14, v28
	s_delay_alu instid0(VALU_DEP_4) | instskip(NEXT) | instid1(VALU_DEP_3)
	v_add_lshl_u32 v26, v26, v84, 7
	v_add_lshl_u32 v27, v27, v85, 7
	s_delay_alu instid0(VALU_DEP_3) | instskip(NEXT) | instid1(VALU_DEP_3)
	v_add_lshl_u32 v28, v28, v86, 7
	v_add3_u32 v26, 0, v26, v25
	s_delay_alu instid0(VALU_DEP_3) | instskip(NEXT) | instid1(VALU_DEP_3)
	v_add3_u32 v27, 0, v27, v25
	v_add3_u32 v28, 0, v28, v25
	v_fma_f64 v[59:60], v[69:70], 2.0, -v[43:44]
	v_fma_f64 v[61:62], v[71:72], 2.0, -v[45:46]
	;; [unrolled: 1-line block ×14, first 2 shown]
	v_and_b32_e32 v31, 0xffff, v100
	v_mul_u32_u24_e32 v33, 14, v64
	v_mul_u32_u24_e32 v34, 14, v81
	;; [unrolled: 1-line block ×3, first 2 shown]
	s_delay_alu instid0(VALU_DEP_4) | instskip(NEXT) | instid1(VALU_DEP_4)
	v_mul_u32_u24_e32 v31, 14, v31
	v_add_lshl_u32 v33, v33, v88, 7
	s_delay_alu instid0(VALU_DEP_4) | instskip(NEXT) | instid1(VALU_DEP_4)
	v_add_lshl_u32 v34, v34, v89, 7
	v_add_lshl_u32 v32, v32, v87, 7
	s_delay_alu instid0(VALU_DEP_4) | instskip(NEXT) | instid1(VALU_DEP_4)
	v_add_lshl_u32 v31, v31, v93, 7
	v_add3_u32 v33, 0, v33, v25
	s_delay_alu instid0(VALU_DEP_4) | instskip(NEXT) | instid1(VALU_DEP_4)
	v_add3_u32 v34, 0, v34, v25
	v_add3_u32 v32, 0, v32, v25
	s_delay_alu instid0(VALU_DEP_4)
	v_add3_u32 v25, 0, v31, v25
	ds_store_b128 v26, v[59:62]
	ds_store_b128 v26, v[43:46] offset:896
	ds_store_b128 v27, v[69:72]
	ds_store_b128 v27, v[47:50] offset:896
	;; [unrolled: 2-line block ×7, first 2 shown]
	global_wb scope:SCOPE_SE
	s_wait_dscnt 0x0
	s_barrier_signal -1
	s_barrier_wait -1
	global_inv scope:SCOPE_SE
	ds_load_b128 v[33:36], v29
	ds_load_b128 v[61:64], v29 offset:1792
	ds_load_b128 v[49:52], v29 offset:3584
	;; [unrolled: 1-line block ×7, first 2 shown]
                                        ; implicit-def: $vgpr27_vgpr28
                                        ; implicit-def: $vgpr31_vgpr32
	s_and_saveexec_b32 s6, vcc_lo
	s_cbranch_execz .LBB0_2
; %bb.1:
	ds_load_b128 v[1:4], v29 offset:2816
	ds_load_b128 v[13:16], v29 offset:4608
	;; [unrolled: 1-line block ×6, first 2 shown]
	ds_load_b128 v[17:20], v30
	ds_load_b128 v[29:32], v29 offset:13568
.LBB0_2:
	s_wait_alu 0xfffe
	s_or_b32 exec_lo, exec_lo, s6
	v_mul_u32_u24_e32 v69, 7, v66
	s_mov_b32 s6, 0x667f3bcd
	s_mov_b32 s7, 0xbfe6a09e
	;; [unrolled: 1-line block ×3, first 2 shown]
	s_wait_alu 0xfffe
	s_mov_b32 s8, s6
	v_lshlrev_b32_e32 v93, 4, v69
	v_sub_nc_u32_e32 v0, v0, v0
	s_mul_i32 s10, s14, 14
	s_mul_u64 s[0:1], s[0:1], s[16:17]
	s_clause 0x6
	global_load_b128 v[69:72], v93, s[4:5] offset:112
	global_load_b128 v[73:76], v93, s[4:5] offset:128
	;; [unrolled: 1-line block ×7, first 2 shown]
	v_add_nc_u32_e32 v0, v0, v66
	s_wait_alu 0xfffe
	s_lshl_b64 s[0:1], s[0:1], 4
	s_wait_alu 0xfffe
	s_add_nc_u64 s[0:1], s[0:1], s[2:3]
	s_wait_loadcnt_dscnt 0x606
	v_mul_f64_e32 v[97:98], v[63:64], v[71:72]
	v_mul_f64_e32 v[71:72], v[61:62], v[71:72]
	s_wait_loadcnt_dscnt 0x505
	v_mul_f64_e32 v[99:100], v[51:52], v[75:76]
	v_mul_f64_e32 v[75:76], v[49:50], v[75:76]
	;; [unrolled: 3-line block ×4, first 2 shown]
	s_wait_loadcnt 0x2
	v_mul_f64_e32 v[105:106], v[47:48], v[87:88]
	v_mul_f64_e32 v[87:88], v[45:46], v[87:88]
	s_wait_loadcnt 0x1
	v_mul_f64_e32 v[107:108], v[39:40], v[91:92]
	v_mul_f64_e32 v[91:92], v[37:38], v[91:92]
	s_wait_loadcnt_dscnt 0x0
	v_mul_f64_e32 v[109:110], v[43:44], v[95:96]
	v_mul_f64_e32 v[95:96], v[41:42], v[95:96]
	v_fma_f64 v[61:62], v[61:62], v[69:70], -v[97:98]
	v_fma_f64 v[63:64], v[63:64], v[69:70], v[71:72]
	v_fma_f64 v[49:50], v[49:50], v[73:74], -v[99:100]
	v_fma_f64 v[51:52], v[51:52], v[73:74], v[75:76]
	;; [unrolled: 2-line block ×7, first 2 shown]
	v_add_f64_e64 v[53:54], v[33:34], -v[53:54]
	v_add_f64_e64 v[55:56], v[35:36], -v[55:56]
	;; [unrolled: 1-line block ×8, first 2 shown]
	v_fma_f64 v[33:34], v[33:34], 2.0, -v[53:54]
	v_fma_f64 v[35:36], v[35:36], 2.0, -v[55:56]
	;; [unrolled: 1-line block ×6, first 2 shown]
	v_add_f64_e64 v[59:60], v[53:54], -v[59:60]
	v_add_f64_e32 v[57:58], v[55:56], v[57:58]
	v_fma_f64 v[37:38], v[37:38], 2.0, -v[41:42]
	v_fma_f64 v[39:40], v[39:40], 2.0, -v[43:44]
	v_add_f64_e64 v[43:44], v[45:46], -v[43:44]
	v_add_f64_e32 v[41:42], v[47:48], v[41:42]
	v_add_f64_e64 v[69:70], v[33:34], -v[49:50]
	v_add_f64_e64 v[71:72], v[35:36], -v[51:52]
	v_fma_f64 v[73:74], v[53:54], 2.0, -v[59:60]
	v_fma_f64 v[75:76], v[55:56], 2.0, -v[57:58]
	v_add_f64_e64 v[37:38], v[61:62], -v[37:38]
	v_add_f64_e64 v[39:40], v[63:64], -v[39:40]
	v_fma_f64 v[49:50], v[45:46], 2.0, -v[43:44]
	v_fma_f64 v[46:47], v[47:48], 2.0, -v[41:42]
	v_fma_f64 v[51:52], v[43:44], s[8:9], v[59:60]
	v_fma_f64 v[53:54], v[41:42], s[8:9], v[57:58]
	v_fma_f64 v[77:78], v[33:34], 2.0, -v[69:70]
	v_fma_f64 v[79:80], v[35:36], 2.0, -v[71:72]
	v_or_b32_e32 v33, s20, v67
	v_fma_f64 v[55:56], v[61:62], 2.0, -v[37:38]
	v_fma_f64 v[61:62], v[63:64], 2.0, -v[39:40]
	v_fma_f64 v[81:82], v[49:50], s[6:7], v[73:74]
	v_fma_f64 v[83:84], v[46:47], s[6:7], v[75:76]
	v_add_f64_e64 v[34:35], v[69:70], -v[39:40]
	v_add_f64_e32 v[36:37], v[71:72], v[37:38]
	v_fma_f64 v[38:39], v[41:42], s[6:7], v[51:52]
	v_fma_f64 v[40:41], v[43:44], s[8:9], v[53:54]
	v_mad_co_u64_u32 v[85:86], null, s12, v33, 0
	v_mul_lo_u32 v64, v0, s14
	s_delay_alu instid0(VALU_DEP_2)
	v_mov_b32_e32 v0, v86
	v_add_f64_e64 v[42:43], v[77:78], -v[55:56]
	v_add_f64_e64 v[44:45], v[79:80], -v[61:62]
	v_fma_f64 v[46:47], v[46:47], s[6:7], v[81:82]
	v_fma_f64 v[48:49], v[49:50], s[8:9], v[83:84]
	v_mad_co_u64_u32 v[50:51], null, s13, v33, v[0:1]
	v_lshlrev_b64_e32 v[62:63], 4, v[64:65]
	v_add_nc_u32_e32 v64, s10, v64
	v_fma_f64 v[54:55], v[59:60], 2.0, -v[38:39]
	v_fma_f64 v[56:57], v[57:58], 2.0, -v[40:41]
	v_fma_f64 v[52:53], v[71:72], 2.0, -v[36:37]
	v_mov_b32_e32 v86, v50
	v_lshlrev_b64_e32 v[81:82], 4, v[64:65]
	v_add_nc_u32_e32 v64, s10, v64
	s_delay_alu instid0(VALU_DEP_3) | instskip(NEXT) | instid1(VALU_DEP_2)
	v_lshlrev_b64_e32 v[50:51], 4, v[85:86]
	v_lshlrev_b64_e32 v[83:84], 4, v[64:65]
	v_add_nc_u32_e32 v64, s10, v64
	s_wait_alu 0xfffe
	s_delay_alu instid0(VALU_DEP_3)
	v_add_co_u32 v0, s0, s0, v50
	s_wait_alu 0xf1ff
	v_add_co_ci_u32_e64 v33, s0, s1, v51, s0
	v_fma_f64 v[50:51], v[69:70], 2.0, -v[34:35]
	v_lshlrev_b64_e32 v[85:86], 4, v[64:65]
	v_add_nc_u32_e32 v64, s10, v64
	v_add_co_u32 v62, s0, v0, v62
	s_wait_alu 0xf1ff
	v_add_co_ci_u32_e64 v63, s0, v33, v63, s0
	s_delay_alu instid0(VALU_DEP_3)
	v_lshlrev_b64_e32 v[87:88], 4, v[64:65]
	v_add_nc_u32_e32 v64, s10, v64
	v_fma_f64 v[58:59], v[77:78], 2.0, -v[42:43]
	v_fma_f64 v[60:61], v[79:80], 2.0, -v[44:45]
	;; [unrolled: 1-line block ×4, first 2 shown]
	v_add_co_u32 v73, s0, v0, v81
	s_wait_alu 0xf1ff
	v_add_co_ci_u32_e64 v74, s0, v33, v82, s0
	v_lshlrev_b64_e32 v[79:80], 4, v[64:65]
	v_add_nc_u32_e32 v64, s10, v64
	v_add_co_u32 v75, s0, v0, v83
	s_wait_alu 0xf1ff
	v_add_co_ci_u32_e64 v76, s0, v33, v84, s0
	v_add_co_u32 v77, s0, v0, v85
	v_lshlrev_b64_e32 v[83:84], 4, v[64:65]
	v_add_nc_u32_e32 v64, s10, v64
	s_wait_alu 0xf1ff
	v_add_co_ci_u32_e64 v78, s0, v33, v86, s0
	v_add_co_u32 v81, s0, v0, v87
	s_wait_alu 0xf1ff
	v_add_co_ci_u32_e64 v82, s0, v33, v88, s0
	v_add_co_u32 v79, s0, v0, v79
	v_lshlrev_b64_e32 v[64:65], 4, v[64:65]
	s_wait_alu 0xf1ff
	v_add_co_ci_u32_e64 v80, s0, v33, v80, s0
	v_add_co_u32 v83, s0, v0, v83
	s_wait_alu 0xf1ff
	v_add_co_ci_u32_e64 v84, s0, v33, v84, s0
	v_add_co_u32 v64, s0, v0, v64
	s_wait_alu 0xf1ff
	v_add_co_ci_u32_e64 v65, s0, v33, v65, s0
	s_clause 0x7
	global_store_b128 v[62:63], v[58:61], off
	global_store_b128 v[73:74], v[69:72], off
	;; [unrolled: 1-line block ×8, first 2 shown]
	s_and_saveexec_b32 s0, vcc_lo
	s_cbranch_execz .LBB0_4
; %bb.3:
	v_mul_lo_u16 v34, v68, 19
	s_delay_alu instid0(VALU_DEP_1) | instskip(NEXT) | instid1(VALU_DEP_1)
	v_lshrrev_b16 v34, 8, v34
	v_mul_lo_u16 v34, v34, 14
	s_delay_alu instid0(VALU_DEP_1) | instskip(NEXT) | instid1(VALU_DEP_1)
	v_sub_nc_u16 v34, v68, v34
	v_mul_lo_u16 v34, v34, 7
	s_delay_alu instid0(VALU_DEP_1) | instskip(NEXT) | instid1(VALU_DEP_1)
	v_and_b32_e32 v34, 0xff, v34
	v_lshlrev_b32_e32 v58, 4, v34
	s_clause 0x6
	global_load_b128 v[34:37], v58, s[4:5] offset:128
	global_load_b128 v[38:41], v58, s[4:5] offset:192
	;; [unrolled: 1-line block ×7, first 2 shown]
	s_wait_loadcnt 0x6
	v_mul_f64_e32 v[62:63], v[15:16], v[36:37]
	s_wait_loadcnt 0x5
	v_mul_f64_e32 v[64:65], v[27:28], v[40:41]
	;; [unrolled: 2-line block ×7, first 2 shown]
	v_mul_f64_e32 v[48:49], v[1:2], v[48:49]
	v_mul_f64_e32 v[52:53], v[9:10], v[52:53]
	;; [unrolled: 1-line block ×7, first 2 shown]
	v_fma_f64 v[13:14], v[13:14], v[34:35], -v[62:63]
	v_fma_f64 v[25:26], v[25:26], v[38:39], -v[64:65]
	v_fma_f64 v[23:24], v[23:24], v[42:43], v[69:70]
	v_fma_f64 v[1:2], v[1:2], v[46:47], -v[71:72]
	v_fma_f64 v[9:10], v[9:10], v[50:51], -v[73:74]
	v_fma_f64 v[7:8], v[7:8], v[54:55], v[75:76]
	v_fma_f64 v[31:32], v[31:32], v[58:59], v[77:78]
	;; [unrolled: 1-line block ×4, first 2 shown]
	v_fma_f64 v[5:6], v[5:6], v[54:55], -v[56:57]
	v_fma_f64 v[29:30], v[29:30], v[58:59], -v[60:61]
	;; [unrolled: 1-line block ×3, first 2 shown]
	v_fma_f64 v[15:16], v[15:16], v[34:35], v[36:37]
	v_fma_f64 v[27:28], v[27:28], v[38:39], v[40:41]
	v_add_f64_e64 v[25:26], v[13:14], -v[25:26]
	v_add_f64_e64 v[23:24], v[19:20], -v[23:24]
	v_add_f64_e64 v[9:10], v[1:2], -v[9:10]
	v_add_f64_e64 v[31:32], v[7:8], -v[31:32]
	v_add_f64_e64 v[11:12], v[3:4], -v[11:12]
	v_add_f64_e64 v[29:30], v[5:6], -v[29:30]
	v_add_f64_e64 v[21:22], v[17:18], -v[21:22]
	v_add_f64_e64 v[27:28], v[15:16], -v[27:28]
	v_fma_f64 v[13:14], v[13:14], 2.0, -v[25:26]
	v_add_f64_e32 v[34:35], v[23:24], v[25:26]
	v_fma_f64 v[19:20], v[19:20], 2.0, -v[23:24]
	v_fma_f64 v[1:2], v[1:2], 2.0, -v[9:10]
	v_add_f64_e64 v[36:37], v[9:10], -v[31:32]
	v_fma_f64 v[7:8], v[7:8], 2.0, -v[31:32]
	v_fma_f64 v[3:4], v[3:4], 2.0, -v[11:12]
	v_add_f64_e32 v[38:39], v[11:12], v[29:30]
	v_fma_f64 v[17:18], v[17:18], 2.0, -v[21:22]
	v_fma_f64 v[5:6], v[5:6], 2.0, -v[29:30]
	v_add_f64_e64 v[40:41], v[21:22], -v[27:28]
	v_fma_f64 v[15:16], v[15:16], 2.0, -v[27:28]
	v_fma_f64 v[25:26], v[23:24], 2.0, -v[34:35]
	;; [unrolled: 1-line block ×4, first 2 shown]
	v_add_f64_e64 v[11:12], v[3:4], -v[7:8]
	v_add_f64_e64 v[27:28], v[17:18], -v[13:14]
	v_fma_f64 v[29:30], v[21:22], 2.0, -v[40:41]
	v_add_f64_e64 v[21:22], v[19:20], -v[15:16]
	v_add_f64_e64 v[5:6], v[1:2], -v[5:6]
	v_fma_f64 v[7:8], v[38:39], s[8:9], v[34:35]
	v_fma_f64 v[13:14], v[36:37], s[8:9], v[40:41]
	;; [unrolled: 1-line block ×3, first 2 shown]
	v_fma_f64 v[44:45], v[17:18], 2.0, -v[27:28]
	v_fma_f64 v[31:32], v[9:10], s[6:7], v[29:30]
	v_fma_f64 v[42:43], v[19:20], 2.0, -v[21:22]
	v_fma_f64 v[19:20], v[3:4], 2.0, -v[11:12]
	;; [unrolled: 1-line block ×3, first 2 shown]
	v_fma_f64 v[3:4], v[36:37], s[8:9], v[7:8]
	v_fma_f64 v[1:2], v[38:39], s[6:7], v[13:14]
	v_add_f64_e32 v[7:8], v[21:22], v[5:6]
	v_add_f64_e64 v[5:6], v[27:28], -v[11:12]
	v_mul_lo_u32 v36, v68, s14
	v_mov_b32_e32 v37, 0
	v_fma_f64 v[11:12], v[9:10], s[8:9], v[15:16]
	v_fma_f64 v[9:10], v[23:24], s[6:7], v[31:32]
	v_add_f64_e64 v[15:16], v[42:43], -v[19:20]
	v_add_f64_e64 v[13:14], v[44:45], -v[17:18]
	v_add_nc_u32_e32 v18, 22, v66
	v_or_b32_e32 v17, 64, v66
	v_lshlrev_b64_e32 v[19:20], 4, v[36:37]
	v_fma_f64 v[23:24], v[21:22], 2.0, -v[7:8]
	v_fma_f64 v[21:22], v[27:28], 2.0, -v[5:6]
	v_mul_lo_u32 v36, v18, s14
	v_mul_lo_u32 v17, v17, s14
	v_mov_b32_e32 v18, v37
	v_add_co_u32 v48, vcc_lo, v0, v19
	s_wait_alu 0xfffd
	v_add_co_ci_u32_e32 v49, vcc_lo, v33, v20, vcc_lo
	v_fma_f64 v[19:20], v[34:35], 2.0, -v[3:4]
	v_lshlrev_b64_e32 v[46:47], 4, v[36:37]
	v_add_nc_u32_e32 v36, s10, v36
	v_lshlrev_b64_e32 v[38:39], 4, v[17:18]
	v_fma_f64 v[17:18], v[40:41], 2.0, -v[1:2]
	s_delay_alu instid0(VALU_DEP_3) | instskip(SKIP_1) | instid1(VALU_DEP_4)
	v_lshlrev_b64_e32 v[50:51], 4, v[36:37]
	v_add_nc_u32_e32 v36, s10, v36
	v_add_co_u32 v34, vcc_lo, v0, v38
	s_wait_alu 0xfffd
	v_add_co_ci_u32_e32 v35, vcc_lo, v33, v39, vcc_lo
	s_delay_alu instid0(VALU_DEP_3)
	v_mad_co_u64_u32 v[38:39], null, s14, 28, v[36:37]
	v_mov_b32_e32 v39, v37
	v_add_co_u32 v40, vcc_lo, v0, v46
	s_wait_alu 0xfffd
	v_add_co_ci_u32_e32 v41, vcc_lo, v33, v47, vcc_lo
	v_fma_f64 v[27:28], v[25:26], 2.0, -v[11:12]
	v_lshlrev_b64_e32 v[46:47], 4, v[38:39]
	v_fma_f64 v[25:26], v[29:30], 2.0, -v[9:10]
	v_fma_f64 v[31:32], v[42:43], 2.0, -v[15:16]
	;; [unrolled: 1-line block ×3, first 2 shown]
	v_lshlrev_b64_e32 v[42:43], 4, v[36:37]
	v_add_co_u32 v44, vcc_lo, v0, v50
	v_add_nc_u32_e32 v36, s10, v38
	s_wait_alu 0xfffd
	v_add_co_ci_u32_e32 v45, vcc_lo, v33, v51, vcc_lo
	s_delay_alu instid0(VALU_DEP_4)
	v_add_co_u32 v38, vcc_lo, v0, v42
	s_wait_alu 0xfffd
	v_add_co_ci_u32_e32 v39, vcc_lo, v33, v43, vcc_lo
	v_lshlrev_b64_e32 v[42:43], 4, v[36:37]
	v_add_nc_u32_e32 v36, s10, v36
	v_add_co_u32 v46, vcc_lo, v0, v46
	s_wait_alu 0xfffd
	v_add_co_ci_u32_e32 v47, vcc_lo, v33, v47, vcc_lo
	s_delay_alu instid0(VALU_DEP_3) | instskip(SKIP_3) | instid1(VALU_DEP_3)
	v_lshlrev_b64_e32 v[36:37], 4, v[36:37]
	v_add_co_u32 v42, vcc_lo, v0, v42
	s_wait_alu 0xfffd
	v_add_co_ci_u32_e32 v43, vcc_lo, v33, v43, vcc_lo
	v_add_co_u32 v36, vcc_lo, v0, v36
	s_wait_alu 0xfffd
	v_add_co_ci_u32_e32 v37, vcc_lo, v33, v37, vcc_lo
	s_clause 0x7
	global_store_b128 v[48:49], v[29:32], off
	global_store_b128 v[40:41], v[25:28], off
	;; [unrolled: 1-line block ×8, first 2 shown]
.LBB0_4:
	s_nop 0
	s_sendmsg sendmsg(MSG_DEALLOC_VGPRS)
	s_endpgm
	.section	.rodata,"a",@progbits
	.p2align	6, 0x0
	.amdhsa_kernel fft_rtc_fwd_len112_factors_7_2_8_wgs_64_tpt_8_dim2_dp_op_CI_CI_sbrc_aligned_dirReg
		.amdhsa_group_segment_fixed_size 0
		.amdhsa_private_segment_fixed_size 0
		.amdhsa_kernarg_size 96
		.amdhsa_user_sgpr_count 2
		.amdhsa_user_sgpr_dispatch_ptr 0
		.amdhsa_user_sgpr_queue_ptr 0
		.amdhsa_user_sgpr_kernarg_segment_ptr 1
		.amdhsa_user_sgpr_dispatch_id 0
		.amdhsa_user_sgpr_private_segment_size 0
		.amdhsa_wavefront_size32 1
		.amdhsa_uses_dynamic_stack 0
		.amdhsa_enable_private_segment 0
		.amdhsa_system_sgpr_workgroup_id_x 1
		.amdhsa_system_sgpr_workgroup_id_y 0
		.amdhsa_system_sgpr_workgroup_id_z 0
		.amdhsa_system_sgpr_workgroup_info 0
		.amdhsa_system_vgpr_workitem_id 0
		.amdhsa_next_free_vgpr 111
		.amdhsa_next_free_sgpr 28
		.amdhsa_reserve_vcc 1
		.amdhsa_float_round_mode_32 0
		.amdhsa_float_round_mode_16_64 0
		.amdhsa_float_denorm_mode_32 3
		.amdhsa_float_denorm_mode_16_64 3
		.amdhsa_fp16_overflow 0
		.amdhsa_workgroup_processor_mode 1
		.amdhsa_memory_ordered 1
		.amdhsa_forward_progress 0
		.amdhsa_round_robin_scheduling 0
		.amdhsa_exception_fp_ieee_invalid_op 0
		.amdhsa_exception_fp_denorm_src 0
		.amdhsa_exception_fp_ieee_div_zero 0
		.amdhsa_exception_fp_ieee_overflow 0
		.amdhsa_exception_fp_ieee_underflow 0
		.amdhsa_exception_fp_ieee_inexact 0
		.amdhsa_exception_int_div_zero 0
	.end_amdhsa_kernel
	.text
.Lfunc_end0:
	.size	fft_rtc_fwd_len112_factors_7_2_8_wgs_64_tpt_8_dim2_dp_op_CI_CI_sbrc_aligned_dirReg, .Lfunc_end0-fft_rtc_fwd_len112_factors_7_2_8_wgs_64_tpt_8_dim2_dp_op_CI_CI_sbrc_aligned_dirReg
                                        ; -- End function
	.section	.AMDGPU.csdata,"",@progbits
; Kernel info:
; codeLenInByte = 8108
; NumSgprs: 30
; NumVgprs: 111
; ScratchSize: 0
; MemoryBound: 0
; FloatMode: 240
; IeeeMode: 1
; LDSByteSize: 0 bytes/workgroup (compile time only)
; SGPRBlocks: 3
; VGPRBlocks: 13
; NumSGPRsForWavesPerEU: 30
; NumVGPRsForWavesPerEU: 111
; Occupancy: 12
; WaveLimiterHint : 1
; COMPUTE_PGM_RSRC2:SCRATCH_EN: 0
; COMPUTE_PGM_RSRC2:USER_SGPR: 2
; COMPUTE_PGM_RSRC2:TRAP_HANDLER: 0
; COMPUTE_PGM_RSRC2:TGID_X_EN: 1
; COMPUTE_PGM_RSRC2:TGID_Y_EN: 0
; COMPUTE_PGM_RSRC2:TGID_Z_EN: 0
; COMPUTE_PGM_RSRC2:TIDIG_COMP_CNT: 0
	.text
	.p2alignl 7, 3214868480
	.fill 96, 4, 3214868480
	.type	__hip_cuid_48c152fc3a61e413,@object ; @__hip_cuid_48c152fc3a61e413
	.section	.bss,"aw",@nobits
	.globl	__hip_cuid_48c152fc3a61e413
__hip_cuid_48c152fc3a61e413:
	.byte	0                               ; 0x0
	.size	__hip_cuid_48c152fc3a61e413, 1

	.ident	"AMD clang version 19.0.0git (https://github.com/RadeonOpenCompute/llvm-project roc-6.4.0 25133 c7fe45cf4b819c5991fe208aaa96edf142730f1d)"
	.section	".note.GNU-stack","",@progbits
	.addrsig
	.addrsig_sym __hip_cuid_48c152fc3a61e413
	.amdgpu_metadata
---
amdhsa.kernels:
  - .args:
      - .actual_access:  read_only
        .address_space:  global
        .offset:         0
        .size:           8
        .value_kind:     global_buffer
      - .actual_access:  read_only
        .address_space:  global
        .offset:         8
        .size:           8
        .value_kind:     global_buffer
      - .actual_access:  read_only
        .address_space:  global
        .offset:         16
        .size:           8
        .value_kind:     global_buffer
      - .actual_access:  read_only
        .address_space:  global
        .offset:         24
        .size:           8
        .value_kind:     global_buffer
      - .offset:         32
        .size:           8
        .value_kind:     by_value
      - .actual_access:  read_only
        .address_space:  global
        .offset:         40
        .size:           8
        .value_kind:     global_buffer
      - .actual_access:  read_only
        .address_space:  global
        .offset:         48
        .size:           8
        .value_kind:     global_buffer
      - .offset:         56
        .size:           4
        .value_kind:     by_value
      - .actual_access:  read_only
        .address_space:  global
        .offset:         64
        .size:           8
        .value_kind:     global_buffer
      - .actual_access:  read_only
        .address_space:  global
        .offset:         72
        .size:           8
        .value_kind:     global_buffer
      - .actual_access:  read_only
        .address_space:  global
        .offset:         80
        .size:           8
        .value_kind:     global_buffer
      - .actual_access:  write_only
        .address_space:  global
        .offset:         88
        .size:           8
        .value_kind:     global_buffer
    .group_segment_fixed_size: 0
    .kernarg_segment_align: 8
    .kernarg_segment_size: 96
    .language:       OpenCL C
    .language_version:
      - 2
      - 0
    .max_flat_workgroup_size: 64
    .name:           fft_rtc_fwd_len112_factors_7_2_8_wgs_64_tpt_8_dim2_dp_op_CI_CI_sbrc_aligned_dirReg
    .private_segment_fixed_size: 0
    .sgpr_count:     30
    .sgpr_spill_count: 0
    .symbol:         fft_rtc_fwd_len112_factors_7_2_8_wgs_64_tpt_8_dim2_dp_op_CI_CI_sbrc_aligned_dirReg.kd
    .uniform_work_group_size: 1
    .uses_dynamic_stack: false
    .vgpr_count:     111
    .vgpr_spill_count: 0
    .wavefront_size: 32
    .workgroup_processor_mode: 1
amdhsa.target:   amdgcn-amd-amdhsa--gfx1201
amdhsa.version:
  - 1
  - 2
...

	.end_amdgpu_metadata
